;; amdgpu-corpus repo=ROCm/rocFFT kind=compiled arch=gfx1201 opt=O3
	.text
	.amdgcn_target "amdgcn-amd-amdhsa--gfx1201"
	.amdhsa_code_object_version 6
	.protected	fft_rtc_fwd_len875_factors_7_5_5_5_wgs_175_tpt_175_dp_op_CI_CI_sbrr_dirReg ; -- Begin function fft_rtc_fwd_len875_factors_7_5_5_5_wgs_175_tpt_175_dp_op_CI_CI_sbrr_dirReg
	.globl	fft_rtc_fwd_len875_factors_7_5_5_5_wgs_175_tpt_175_dp_op_CI_CI_sbrr_dirReg
	.p2align	8
	.type	fft_rtc_fwd_len875_factors_7_5_5_5_wgs_175_tpt_175_dp_op_CI_CI_sbrr_dirReg,@function
fft_rtc_fwd_len875_factors_7_5_5_5_wgs_175_tpt_175_dp_op_CI_CI_sbrr_dirReg: ; @fft_rtc_fwd_len875_factors_7_5_5_5_wgs_175_tpt_175_dp_op_CI_CI_sbrr_dirReg
; %bb.0:
	s_clause 0x2
	s_load_b128 s[12:15], s[0:1], 0x18
	s_load_b128 s[8:11], s[0:1], 0x0
	;; [unrolled: 1-line block ×3, first 2 shown]
	v_mul_u32_u24_e32 v1, 0x177, v0
	v_mov_b32_e32 v32, 0
	v_mov_b32_e32 v33, 0
	s_wait_kmcnt 0x0
	s_load_b64 s[18:19], s[12:13], 0x0
	s_load_b64 s[16:17], s[14:15], 0x0
	v_lshrrev_b32_e32 v2, 16, v1
	v_mov_b32_e32 v1, 0
	v_cmp_lt_u64_e64 s2, s[10:11], 2
	s_delay_alu instid0(VALU_DEP_2) | instskip(NEXT) | instid1(VALU_DEP_2)
	v_dual_mov_b32 v4, v1 :: v_dual_add_nc_u32 v3, ttmp9, v2
	s_and_b32 vcc_lo, exec_lo, s2
	s_cbranch_vccnz .LBB0_8
; %bb.1:
	s_load_b64 s[2:3], s[0:1], 0x10
	v_mov_b32_e32 v32, 0
	v_mov_b32_e32 v33, 0
	s_delay_alu instid0(VALU_DEP_2)
	v_mov_b32_e32 v28, v32
	s_add_nc_u64 s[20:21], s[14:15], 8
	s_add_nc_u64 s[22:23], s[12:13], 8
	s_mov_b64 s[24:25], 1
	v_mov_b32_e32 v29, v33
	s_wait_kmcnt 0x0
	s_add_nc_u64 s[26:27], s[2:3], 8
	s_mov_b32 s3, 0
.LBB0_2:                                ; =>This Inner Loop Header: Depth=1
	s_load_b64 s[28:29], s[26:27], 0x0
                                        ; implicit-def: $vgpr30_vgpr31
	s_mov_b32 s2, exec_lo
	s_wait_kmcnt 0x0
	v_or_b32_e32 v2, s29, v4
	s_delay_alu instid0(VALU_DEP_1)
	v_cmpx_ne_u64_e32 0, v[1:2]
	s_wait_alu 0xfffe
	s_xor_b32 s30, exec_lo, s2
	s_cbranch_execz .LBB0_4
; %bb.3:                                ;   in Loop: Header=BB0_2 Depth=1
	s_cvt_f32_u32 s2, s28
	s_cvt_f32_u32 s31, s29
	s_sub_nc_u64 s[36:37], 0, s[28:29]
	s_wait_alu 0xfffe
	s_delay_alu instid0(SALU_CYCLE_1) | instskip(SKIP_1) | instid1(SALU_CYCLE_2)
	s_fmamk_f32 s2, s31, 0x4f800000, s2
	s_wait_alu 0xfffe
	v_s_rcp_f32 s2, s2
	s_delay_alu instid0(TRANS32_DEP_1) | instskip(SKIP_1) | instid1(SALU_CYCLE_2)
	s_mul_f32 s2, s2, 0x5f7ffffc
	s_wait_alu 0xfffe
	s_mul_f32 s31, s2, 0x2f800000
	s_wait_alu 0xfffe
	s_delay_alu instid0(SALU_CYCLE_2) | instskip(SKIP_1) | instid1(SALU_CYCLE_2)
	s_trunc_f32 s31, s31
	s_wait_alu 0xfffe
	s_fmamk_f32 s2, s31, 0xcf800000, s2
	s_cvt_u32_f32 s35, s31
	s_wait_alu 0xfffe
	s_delay_alu instid0(SALU_CYCLE_1) | instskip(SKIP_1) | instid1(SALU_CYCLE_2)
	s_cvt_u32_f32 s34, s2
	s_wait_alu 0xfffe
	s_mul_u64 s[38:39], s[36:37], s[34:35]
	s_wait_alu 0xfffe
	s_mul_hi_u32 s41, s34, s39
	s_mul_i32 s40, s34, s39
	s_mul_hi_u32 s2, s34, s38
	s_mul_i32 s33, s35, s38
	s_wait_alu 0xfffe
	s_add_nc_u64 s[40:41], s[2:3], s[40:41]
	s_mul_hi_u32 s31, s35, s38
	s_mul_hi_u32 s42, s35, s39
	s_add_co_u32 s2, s40, s33
	s_wait_alu 0xfffe
	s_add_co_ci_u32 s2, s41, s31
	s_mul_i32 s38, s35, s39
	s_add_co_ci_u32 s39, s42, 0
	s_wait_alu 0xfffe
	s_add_nc_u64 s[38:39], s[2:3], s[38:39]
	s_wait_alu 0xfffe
	v_add_co_u32 v2, s2, s34, s38
	s_delay_alu instid0(VALU_DEP_1) | instskip(SKIP_1) | instid1(VALU_DEP_1)
	s_cmp_lg_u32 s2, 0
	s_add_co_ci_u32 s35, s35, s39
	v_readfirstlane_b32 s34, v2
	s_wait_alu 0xfffe
	s_delay_alu instid0(VALU_DEP_1)
	s_mul_u64 s[36:37], s[36:37], s[34:35]
	s_wait_alu 0xfffe
	s_mul_hi_u32 s39, s34, s37
	s_mul_i32 s38, s34, s37
	s_mul_hi_u32 s2, s34, s36
	s_mul_i32 s33, s35, s36
	s_wait_alu 0xfffe
	s_add_nc_u64 s[38:39], s[2:3], s[38:39]
	s_mul_hi_u32 s31, s35, s36
	s_mul_hi_u32 s34, s35, s37
	s_wait_alu 0xfffe
	s_add_co_u32 s2, s38, s33
	s_add_co_ci_u32 s2, s39, s31
	s_mul_i32 s36, s35, s37
	s_add_co_ci_u32 s37, s34, 0
	s_wait_alu 0xfffe
	s_add_nc_u64 s[36:37], s[2:3], s[36:37]
	s_wait_alu 0xfffe
	v_add_co_u32 v2, s2, v2, s36
	s_delay_alu instid0(VALU_DEP_1) | instskip(SKIP_1) | instid1(VALU_DEP_1)
	s_cmp_lg_u32 s2, 0
	s_add_co_ci_u32 s2, s35, s37
	v_mul_hi_u32 v11, v3, v2
	s_wait_alu 0xfffe
	v_mad_co_u64_u32 v[5:6], null, v3, s2, 0
	v_mad_co_u64_u32 v[7:8], null, v4, v2, 0
	;; [unrolled: 1-line block ×3, first 2 shown]
	s_delay_alu instid0(VALU_DEP_3) | instskip(SKIP_1) | instid1(VALU_DEP_4)
	v_add_co_u32 v2, vcc_lo, v11, v5
	s_wait_alu 0xfffd
	v_add_co_ci_u32_e32 v5, vcc_lo, 0, v6, vcc_lo
	s_delay_alu instid0(VALU_DEP_2) | instskip(SKIP_1) | instid1(VALU_DEP_2)
	v_add_co_u32 v2, vcc_lo, v2, v7
	s_wait_alu 0xfffd
	v_add_co_ci_u32_e32 v2, vcc_lo, v5, v8, vcc_lo
	s_wait_alu 0xfffd
	v_add_co_ci_u32_e32 v5, vcc_lo, 0, v10, vcc_lo
	s_delay_alu instid0(VALU_DEP_2) | instskip(SKIP_1) | instid1(VALU_DEP_2)
	v_add_co_u32 v2, vcc_lo, v2, v9
	s_wait_alu 0xfffd
	v_add_co_ci_u32_e32 v7, vcc_lo, 0, v5, vcc_lo
	s_delay_alu instid0(VALU_DEP_2) | instskip(SKIP_1) | instid1(VALU_DEP_3)
	v_mul_lo_u32 v8, s29, v2
	v_mad_co_u64_u32 v[5:6], null, s28, v2, 0
	v_mul_lo_u32 v9, s28, v7
	s_delay_alu instid0(VALU_DEP_2) | instskip(NEXT) | instid1(VALU_DEP_2)
	v_sub_co_u32 v5, vcc_lo, v3, v5
	v_add3_u32 v6, v6, v9, v8
	s_delay_alu instid0(VALU_DEP_1) | instskip(SKIP_1) | instid1(VALU_DEP_1)
	v_sub_nc_u32_e32 v8, v4, v6
	s_wait_alu 0xfffd
	v_subrev_co_ci_u32_e64 v8, s2, s29, v8, vcc_lo
	v_add_co_u32 v9, s2, v2, 2
	s_wait_alu 0xf1ff
	v_add_co_ci_u32_e64 v10, s2, 0, v7, s2
	v_sub_co_u32 v11, s2, v5, s28
	v_sub_co_ci_u32_e32 v6, vcc_lo, v4, v6, vcc_lo
	s_wait_alu 0xf1ff
	v_subrev_co_ci_u32_e64 v8, s2, 0, v8, s2
	s_delay_alu instid0(VALU_DEP_3) | instskip(NEXT) | instid1(VALU_DEP_3)
	v_cmp_le_u32_e32 vcc_lo, s28, v11
	v_cmp_eq_u32_e64 s2, s29, v6
	s_wait_alu 0xfffd
	v_cndmask_b32_e64 v11, 0, -1, vcc_lo
	v_cmp_le_u32_e32 vcc_lo, s29, v8
	s_wait_alu 0xfffd
	v_cndmask_b32_e64 v12, 0, -1, vcc_lo
	v_cmp_le_u32_e32 vcc_lo, s28, v5
	;; [unrolled: 3-line block ×3, first 2 shown]
	s_wait_alu 0xfffd
	v_cndmask_b32_e64 v13, 0, -1, vcc_lo
	v_cmp_eq_u32_e32 vcc_lo, s29, v8
	s_wait_alu 0xf1ff
	s_delay_alu instid0(VALU_DEP_2)
	v_cndmask_b32_e64 v5, v13, v5, s2
	s_wait_alu 0xfffd
	v_cndmask_b32_e32 v8, v12, v11, vcc_lo
	v_add_co_u32 v11, vcc_lo, v2, 1
	s_wait_alu 0xfffd
	v_add_co_ci_u32_e32 v12, vcc_lo, 0, v7, vcc_lo
	s_delay_alu instid0(VALU_DEP_3) | instskip(SKIP_1) | instid1(VALU_DEP_2)
	v_cmp_ne_u32_e32 vcc_lo, 0, v8
	s_wait_alu 0xfffd
	v_cndmask_b32_e32 v6, v12, v10, vcc_lo
	v_cndmask_b32_e32 v8, v11, v9, vcc_lo
	v_cmp_ne_u32_e32 vcc_lo, 0, v5
	s_wait_alu 0xfffd
	s_delay_alu instid0(VALU_DEP_2)
	v_dual_cndmask_b32 v31, v7, v6 :: v_dual_cndmask_b32 v30, v2, v8
.LBB0_4:                                ;   in Loop: Header=BB0_2 Depth=1
	s_wait_alu 0xfffe
	s_and_not1_saveexec_b32 s2, s30
	s_cbranch_execz .LBB0_6
; %bb.5:                                ;   in Loop: Header=BB0_2 Depth=1
	v_cvt_f32_u32_e32 v2, s28
	s_sub_co_i32 s30, 0, s28
	v_mov_b32_e32 v31, v1
	s_delay_alu instid0(VALU_DEP_2) | instskip(NEXT) | instid1(TRANS32_DEP_1)
	v_rcp_iflag_f32_e32 v2, v2
	v_mul_f32_e32 v2, 0x4f7ffffe, v2
	s_delay_alu instid0(VALU_DEP_1) | instskip(SKIP_1) | instid1(VALU_DEP_1)
	v_cvt_u32_f32_e32 v2, v2
	s_wait_alu 0xfffe
	v_mul_lo_u32 v5, s30, v2
	s_delay_alu instid0(VALU_DEP_1) | instskip(NEXT) | instid1(VALU_DEP_1)
	v_mul_hi_u32 v5, v2, v5
	v_add_nc_u32_e32 v2, v2, v5
	s_delay_alu instid0(VALU_DEP_1) | instskip(NEXT) | instid1(VALU_DEP_1)
	v_mul_hi_u32 v2, v3, v2
	v_mul_lo_u32 v5, v2, s28
	v_add_nc_u32_e32 v6, 1, v2
	s_delay_alu instid0(VALU_DEP_2) | instskip(NEXT) | instid1(VALU_DEP_1)
	v_sub_nc_u32_e32 v5, v3, v5
	v_subrev_nc_u32_e32 v7, s28, v5
	v_cmp_le_u32_e32 vcc_lo, s28, v5
	s_wait_alu 0xfffd
	s_delay_alu instid0(VALU_DEP_2) | instskip(NEXT) | instid1(VALU_DEP_1)
	v_dual_cndmask_b32 v5, v5, v7 :: v_dual_cndmask_b32 v2, v2, v6
	v_cmp_le_u32_e32 vcc_lo, s28, v5
	s_delay_alu instid0(VALU_DEP_2) | instskip(SKIP_1) | instid1(VALU_DEP_1)
	v_add_nc_u32_e32 v6, 1, v2
	s_wait_alu 0xfffd
	v_cndmask_b32_e32 v30, v2, v6, vcc_lo
.LBB0_6:                                ;   in Loop: Header=BB0_2 Depth=1
	s_wait_alu 0xfffe
	s_or_b32 exec_lo, exec_lo, s2
	v_mul_lo_u32 v2, v31, s28
	s_delay_alu instid0(VALU_DEP_2)
	v_mul_lo_u32 v7, v30, s29
	s_load_b64 s[30:31], s[22:23], 0x0
	v_mad_co_u64_u32 v[5:6], null, v30, s28, 0
	s_load_b64 s[28:29], s[20:21], 0x0
	s_add_nc_u64 s[24:25], s[24:25], 1
	s_add_nc_u64 s[20:21], s[20:21], 8
	s_wait_alu 0xfffe
	v_cmp_ge_u64_e64 s2, s[24:25], s[10:11]
	s_add_nc_u64 s[22:23], s[22:23], 8
	s_add_nc_u64 s[26:27], s[26:27], 8
	v_add3_u32 v2, v6, v7, v2
	v_sub_co_u32 v3, vcc_lo, v3, v5
	s_wait_alu 0xfffd
	s_delay_alu instid0(VALU_DEP_2) | instskip(SKIP_2) | instid1(VALU_DEP_1)
	v_sub_co_ci_u32_e32 v2, vcc_lo, v4, v2, vcc_lo
	s_and_b32 vcc_lo, exec_lo, s2
	s_wait_kmcnt 0x0
	v_mul_lo_u32 v4, s30, v2
	v_mul_lo_u32 v5, s31, v3
	v_mad_co_u64_u32 v[32:33], null, s30, v3, v[32:33]
	v_mul_lo_u32 v2, s28, v2
	v_mul_lo_u32 v6, s29, v3
	v_mad_co_u64_u32 v[28:29], null, s28, v3, v[28:29]
	s_delay_alu instid0(VALU_DEP_4) | instskip(NEXT) | instid1(VALU_DEP_2)
	v_add3_u32 v33, v5, v33, v4
	v_add3_u32 v29, v6, v29, v2
	s_wait_alu 0xfffe
	s_cbranch_vccnz .LBB0_9
; %bb.7:                                ;   in Loop: Header=BB0_2 Depth=1
	v_dual_mov_b32 v3, v30 :: v_dual_mov_b32 v4, v31
	s_branch .LBB0_2
.LBB0_8:
	v_dual_mov_b32 v28, v32 :: v_dual_mov_b32 v29, v33
	s_delay_alu instid0(VALU_DEP_2)
	v_dual_mov_b32 v31, v4 :: v_dual_mov_b32 v30, v3
.LBB0_9:
	s_load_b64 s[0:1], s[0:1], 0x28
	s_lshl_b64 s[10:11], s[10:11], 3
	v_mul_hi_u32 v1, 0x1767dcf, v0
	s_wait_alu 0xfffe
	s_add_nc_u64 s[2:3], s[14:15], s[10:11]
	v_mov_b32_e32 v34, 0
	s_load_b64 s[2:3], s[2:3], 0x0
                                        ; implicit-def: $vgpr22_vgpr23
                                        ; implicit-def: $vgpr26_vgpr27
                                        ; implicit-def: $vgpr18_vgpr19
                                        ; implicit-def: $vgpr14_vgpr15
                                        ; implicit-def: $vgpr10_vgpr11
                                        ; implicit-def: $vgpr6_vgpr7
                                        ; implicit-def: $vgpr2_vgpr3
	s_delay_alu instid0(VALU_DEP_2) | instskip(NEXT) | instid1(VALU_DEP_1)
	v_mul_u32_u24_e32 v1, 0xaf, v1
	v_sub_nc_u32_e32 v35, v0, v1
	s_wait_kmcnt 0x0
	v_cmp_gt_u64_e32 vcc_lo, s[0:1], v[30:31]
	s_and_saveexec_b32 s1, vcc_lo
	s_cbranch_execz .LBB0_13
; %bb.10:
	s_mov_b32 s14, exec_lo
                                        ; implicit-def: $vgpr0_vgpr1
                                        ; implicit-def: $vgpr4_vgpr5
                                        ; implicit-def: $vgpr8_vgpr9
                                        ; implicit-def: $vgpr12_vgpr13
                                        ; implicit-def: $vgpr16_vgpr17
                                        ; implicit-def: $vgpr24_vgpr25
                                        ; implicit-def: $vgpr20_vgpr21
	v_cmpx_gt_u32_e32 0x7d, v35
	s_cbranch_execz .LBB0_12
; %bb.11:
	s_add_nc_u64 s[10:11], s[12:13], s[10:11]
	v_mad_co_u64_u32 v[0:1], null, s18, v35, 0
	s_load_b64 s[10:11], s[10:11], 0x0
	v_lshlrev_b64_e32 v[2:3], 4, v[32:33]
	v_add_nc_u32_e32 v17, 0xfa, v35
	v_add_nc_u32_e32 v19, 0x1f4, v35
	;; [unrolled: 1-line block ×3, first 2 shown]
	s_delay_alu instid0(VALU_DEP_4) | instskip(SKIP_2) | instid1(VALU_DEP_3)
	v_mad_co_u64_u32 v[10:11], null, s19, v35, v[1:2]
	v_add_nc_u32_e32 v18, 0x177, v35
	v_mad_co_u64_u32 v[8:9], null, s18, v17, 0
	v_mov_b32_e32 v1, v10
	s_delay_alu instid0(VALU_DEP_3) | instskip(SKIP_1) | instid1(VALU_DEP_4)
	v_mad_co_u64_u32 v[11:12], null, s18, v18, 0
	v_add_nc_u32_e32 v15, 0x7d, v35
	v_mad_co_u64_u32 v[9:10], null, s19, v17, v[9:10]
	s_wait_kmcnt 0x0
	v_mul_lo_u32 v13, s11, v30
	v_mul_lo_u32 v14, s10, v31
	v_mad_co_u64_u32 v[4:5], null, s10, v30, 0
	v_mad_co_u64_u32 v[6:7], null, s18, v15, 0
	v_lshlrev_b64_e32 v[0:1], 4, v[0:1]
	s_delay_alu instid0(VALU_DEP_3) | instskip(SKIP_1) | instid1(VALU_DEP_4)
	v_add3_u32 v5, v5, v14, v13
	v_mad_co_u64_u32 v[13:14], null, s18, v19, 0
	v_mad_co_u64_u32 v[15:16], null, s19, v15, v[7:8]
	s_delay_alu instid0(VALU_DEP_3) | instskip(SKIP_1) | instid1(VALU_DEP_2)
	v_lshlrev_b64_e32 v[4:5], 4, v[4:5]
	v_lshlrev_b64_e32 v[8:9], 4, v[8:9]
	v_add_co_u32 v4, s0, s4, v4
	s_wait_alu 0xf1ff
	s_delay_alu instid0(VALU_DEP_3) | instskip(SKIP_1) | instid1(VALU_DEP_3)
	v_add_co_ci_u32_e64 v5, s0, s5, v5, s0
	v_mov_b32_e32 v7, v15
	v_add_co_u32 v25, s0, v4, v2
	s_wait_alu 0xf1ff
	s_delay_alu instid0(VALU_DEP_3) | instskip(NEXT) | instid1(VALU_DEP_3)
	v_add_co_ci_u32_e64 v26, s0, v5, v3, s0
	v_lshlrev_b64_e32 v[2:3], 4, v[6:7]
	s_delay_alu instid0(VALU_DEP_3) | instskip(SKIP_1) | instid1(VALU_DEP_3)
	v_add_co_u32 v0, s0, v25, v0
	s_wait_alu 0xf1ff
	v_add_co_ci_u32_e64 v1, s0, v26, v1, s0
	s_delay_alu instid0(VALU_DEP_3)
	v_add_co_u32 v4, s0, v25, v2
	s_wait_alu 0xf1ff
	v_add_co_ci_u32_e64 v5, s0, v26, v3, s0
	v_dual_mov_b32 v2, v12 :: v_dual_mov_b32 v3, v14
	v_add_co_u32 v8, s0, v25, v8
	s_wait_alu 0xf1ff
	v_add_co_ci_u32_e64 v9, s0, v26, v9, s0
	s_delay_alu instid0(VALU_DEP_3) | instskip(NEXT) | instid1(VALU_DEP_1)
	v_mad_co_u64_u32 v[17:18], null, s19, v18, v[2:3]
	v_mov_b32_e32 v12, v17
	v_mad_co_u64_u32 v[18:19], null, s19, v19, v[3:4]
	v_add_nc_u32_e32 v21, 0x271, v35
	v_mad_co_u64_u32 v[19:20], null, s18, v22, 0
	s_clause 0x1
	global_load_b128 v[0:3], v[0:1], off
	global_load_b128 v[4:7], v[4:5], off
	v_mov_b32_e32 v14, v18
	v_mad_co_u64_u32 v[15:16], null, s18, v21, 0
	s_delay_alu instid0(VALU_DEP_2) | instskip(NEXT) | instid1(VALU_DEP_2)
	v_lshlrev_b64_e32 v[13:14], 4, v[13:14]
	v_mov_b32_e32 v10, v16
	s_delay_alu instid0(VALU_DEP_1) | instskip(SKIP_2) | instid1(VALU_DEP_1)
	v_mad_co_u64_u32 v[16:17], null, s19, v21, v[10:11]
	v_lshlrev_b64_e32 v[11:12], 4, v[11:12]
	v_mov_b32_e32 v10, v20
	v_mad_co_u64_u32 v[17:18], null, s19, v22, v[10:11]
	v_add_co_u32 v21, s0, v25, v11
	v_lshlrev_b64_e32 v[10:11], 4, v[15:16]
	s_wait_alu 0xf1ff
	v_add_co_ci_u32_e64 v22, s0, v26, v12, s0
	v_add_co_u32 v16, s0, v25, v13
	v_mov_b32_e32 v20, v17
	s_wait_alu 0xf1ff
	v_add_co_ci_u32_e64 v17, s0, v26, v14, s0
	v_add_co_u32 v23, s0, v25, v10
	s_delay_alu instid0(VALU_DEP_3) | instskip(SKIP_2) | instid1(VALU_DEP_2)
	v_lshlrev_b64_e32 v[12:13], 4, v[19:20]
	s_wait_alu 0xf1ff
	v_add_co_ci_u32_e64 v24, s0, v26, v11, s0
	v_add_co_u32 v32, s0, v25, v12
	s_wait_alu 0xf1ff
	s_delay_alu instid0(VALU_DEP_3)
	v_add_co_ci_u32_e64 v33, s0, v26, v13, s0
	s_clause 0x4
	global_load_b128 v[8:11], v[8:9], off
	global_load_b128 v[12:15], v[21:22], off
	;; [unrolled: 1-line block ×5, first 2 shown]
.LBB0_12:
	s_or_b32 exec_lo, exec_lo, s14
	v_mov_b32_e32 v34, v35
.LBB0_13:
	s_wait_alu 0xfffe
	s_or_b32 exec_lo, exec_lo, s1
	s_delay_alu instid0(SALU_CYCLE_1)
	s_mov_b32 s1, exec_lo
	v_cmpx_gt_u32_e32 0x7d, v35
	s_cbranch_execz .LBB0_15
; %bb.14:
	s_wait_loadcnt 0x0
	v_add_f64_e32 v[32:33], v[22:23], v[6:7]
	v_add_f64_e32 v[36:37], v[26:27], v[10:11]
	;; [unrolled: 1-line block ×4, first 2 shown]
	v_add_f64_e64 v[42:43], v[16:17], -v[12:13]
	v_add_f64_e64 v[8:9], v[8:9], -v[24:25]
	v_add_f64_e32 v[24:25], v[18:19], v[14:15]
	v_add_f64_e64 v[14:15], v[18:19], -v[14:15]
	v_add_f64_e64 v[10:11], v[10:11], -v[26:27]
	v_add_f64_e32 v[12:13], v[16:17], v[12:13]
	v_add_f64_e64 v[4:5], v[4:5], -v[20:21]
	v_add_f64_e64 v[6:7], v[6:7], -v[22:23]
	s_mov_b32 s4, 0xe976ee23
	s_mov_b32 s5, 0xbfe11646
	;; [unrolled: 1-line block ×10, first 2 shown]
	v_add_f64_e32 v[16:17], v[36:37], v[32:33]
	v_add_f64_e32 v[18:19], v[40:41], v[38:39]
	v_add_f64_e64 v[20:21], v[42:43], -v[8:9]
	v_add_f64_e64 v[22:23], v[32:33], -v[24:25]
	;; [unrolled: 1-line block ×8, first 2 shown]
	v_add_f64_e32 v[8:9], v[42:43], v[8:9]
	v_add_f64_e64 v[42:43], v[6:7], -v[14:15]
	v_add_f64_e32 v[10:11], v[14:15], v[10:11]
	v_add_f64_e32 v[16:17], v[24:25], v[16:17]
	v_add_f64_e64 v[24:25], v[24:25], -v[36:37]
	v_add_f64_e32 v[18:19], v[12:13], v[18:19]
	v_add_f64_e64 v[12:13], v[12:13], -v[40:41]
	s_wait_alu 0xfffe
	v_mul_f64_e32 v[20:21], s[4:5], v[20:21]
	v_mul_f64_e32 v[22:23], s[10:11], v[22:23]
	v_add_f64_e64 v[36:37], v[40:41], -v[38:39]
	v_mul_f64_e32 v[26:27], s[4:5], v[26:27]
	s_mov_b32 s4, 0x36b3c0b5
	v_mul_f64_e32 v[38:39], s[10:11], v[44:45]
	s_mov_b32 s5, 0x3fac98ee
	v_mul_f64_e32 v[40:41], s[12:13], v[46:47]
	v_mul_f64_e32 v[44:45], s[12:13], v[48:49]
	s_mov_b32 s11, 0x3fd5d0dc
	s_mov_b32 s10, 0xb247c609
	v_add_f64_e32 v[4:5], v[8:9], v[4:5]
	v_add_f64_e32 v[6:7], v[10:11], v[6:7]
	v_add_f64_e32 v[2:3], v[2:3], v[16:17]
	s_wait_alu 0xfffe
	v_mul_f64_e32 v[14:15], s[4:5], v[24:25]
	v_add_f64_e32 v[0:1], v[0:1], v[18:19]
	v_mul_f64_e32 v[52:53], s[4:5], v[12:13]
	v_fma_f64 v[8:9], v[50:51], s[10:11], v[20:21]
	v_fma_f64 v[24:25], v[24:25], s[4:5], v[22:23]
	v_fma_f64 v[22:23], v[32:33], s[18:19], -v[22:23]
	v_fma_f64 v[54:55], v[42:43], s[10:11], v[26:27]
	s_mov_b32 s11, 0xbfd5d0dc
	v_fma_f64 v[56:57], v[36:37], s[18:19], -v[38:39]
	s_mov_b32 s19, 0x3fe77f67
	v_fma_f64 v[12:13], v[12:13], s[4:5], v[38:39]
	v_fma_f64 v[20:21], v[46:47], s[12:13], -v[20:21]
	s_wait_alu 0xfffe
	v_fma_f64 v[40:41], v[50:51], s[10:11], -v[40:41]
	s_mov_b32 s4, 0x37c3f68c
	s_mov_b32 s5, 0x3fdc38aa
	v_fma_f64 v[16:17], v[16:17], s[14:15], v[2:3]
	v_fma_f64 v[10:11], v[32:33], s[18:19], -v[14:15]
	v_fma_f64 v[18:19], v[18:19], s[14:15], v[0:1]
	v_fma_f64 v[14:15], v[48:49], s[12:13], -v[26:27]
	v_fma_f64 v[26:27], v[42:43], s[10:11], -v[44:45]
	;; [unrolled: 1-line block ×3, first 2 shown]
	s_wait_alu 0xfffe
	v_fma_f64 v[8:9], v[4:5], s[4:5], v[8:9]
	v_fma_f64 v[36:37], v[6:7], s[4:5], v[54:55]
	;; [unrolled: 1-line block ×4, first 2 shown]
	v_add_f64_e32 v[24:25], v[24:25], v[16:17]
	v_add_f64_e32 v[22:23], v[22:23], v[16:17]
	;; [unrolled: 1-line block ×4, first 2 shown]
	v_fma_f64 v[40:41], v[6:7], s[4:5], v[26:27]
	v_add_f64_e32 v[44:45], v[56:57], v[18:19]
	v_fma_f64 v[38:39], v[6:7], s[4:5], v[14:15]
	v_add_f64_e32 v[12:13], v[32:33], v[18:19]
	v_mad_u32_u24 v32, 0x70, v35, 0
	v_add_f64_e32 v[6:7], v[8:9], v[24:25]
	v_add_f64_e64 v[26:27], v[24:25], -v[8:9]
	v_add_f64_e32 v[24:25], v[36:37], v[42:43]
	v_add_f64_e32 v[10:11], v[4:5], v[22:23]
	v_add_f64_e64 v[14:15], v[16:17], -v[20:21]
	v_add_f64_e32 v[18:19], v[20:21], v[16:17]
	v_add_f64_e64 v[22:23], v[22:23], -v[4:5]
	;; [unrolled: 2-line block ×4, first 2 shown]
	v_add_f64_e64 v[4:5], v[42:43], -v[36:37]
	ds_store_b128 v32, v[0:3]
	ds_store_b128 v32, v[24:27] offset:16
	ds_store_b128 v32, v[20:23] offset:32
	;; [unrolled: 1-line block ×6, first 2 shown]
.LBB0_15:
	s_wait_alu 0xfffe
	s_or_b32 exec_lo, exec_lo, s1
	s_wait_loadcnt 0x1
	v_and_b32_e32 v27, 0xff, v35
	global_wb scope:SCOPE_SE
	s_wait_loadcnt_dscnt 0x0
	s_barrier_signal -1
	s_barrier_wait -1
	global_inv scope:SCOPE_SE
	v_mul_lo_u16 v0, v27, 37
	s_mov_b32 s14, 0x134454ff
	s_mov_b32 s15, 0x3fee6f0e
	;; [unrolled: 1-line block ×3, first 2 shown]
	s_wait_alu 0xfffe
	s_mov_b32 s12, s14
	v_lshrrev_b16 v0, 8, v0
	s_mov_b32 s4, 0x4755a5e
	s_mov_b32 s5, 0x3fe2cf23
	;; [unrolled: 1-line block ×3, first 2 shown]
	s_wait_alu 0xfffe
	s_mov_b32 s10, s4
	v_sub_nc_u16 v1, v35, v0
	s_mov_b32 s0, 0x372fe950
	s_mov_b32 s1, 0x3fd3c6ef
	s_delay_alu instid0(VALU_DEP_1) | instskip(NEXT) | instid1(VALU_DEP_1)
	v_lshrrev_b16 v1, 1, v1
	v_and_b32_e32 v1, 0x7f, v1
	s_delay_alu instid0(VALU_DEP_1) | instskip(NEXT) | instid1(VALU_DEP_1)
	v_add_nc_u16 v0, v1, v0
	v_lshrrev_b16 v60, 2, v0
	s_delay_alu instid0(VALU_DEP_1) | instskip(NEXT) | instid1(VALU_DEP_1)
	v_mul_lo_u16 v0, v60, 7
	v_sub_nc_u16 v0, v35, v0
	s_delay_alu instid0(VALU_DEP_1) | instskip(NEXT) | instid1(VALU_DEP_1)
	v_and_b32_e32 v61, 0xff, v0
	v_lshlrev_b32_e32 v0, 6, v61
	s_clause 0x3
	global_load_b128 v[1:4], v0, s[8:9]
	global_load_b128 v[5:8], v0, s[8:9] offset:16
	global_load_b128 v[9:12], v0, s[8:9] offset:32
	;; [unrolled: 1-line block ×3, first 2 shown]
	v_lshl_add_u32 v0, v35, 4, 0
	ds_load_b128 v[17:20], v0 offset:2800
	ds_load_b128 v[21:24], v0 offset:5600
	;; [unrolled: 1-line block ×4, first 2 shown]
	s_wait_loadcnt_dscnt 0x303
	v_mul_f64_e32 v[25:26], v[19:20], v[3:4]
	s_wait_loadcnt_dscnt 0x202
	v_mul_f64_e32 v[32:33], v[23:24], v[7:8]
	;; [unrolled: 2-line block ×4, first 2 shown]
	v_mul_f64_e32 v[7:8], v[21:22], v[7:8]
	v_mul_f64_e32 v[11:12], v[36:37], v[11:12]
	;; [unrolled: 1-line block ×4, first 2 shown]
	v_fma_f64 v[17:18], v[17:18], v[1:2], -v[25:26]
	v_fma_f64 v[21:22], v[21:22], v[5:6], -v[32:33]
	;; [unrolled: 1-line block ×4, first 2 shown]
	v_fma_f64 v[5:6], v[23:24], v[5:6], v[7:8]
	v_fma_f64 v[7:8], v[38:39], v[9:10], v[11:12]
	;; [unrolled: 1-line block ×4, first 2 shown]
	ds_load_b128 v[1:4], v0
	global_wb scope:SCOPE_SE
	s_wait_dscnt 0x0
	s_barrier_signal -1
	s_barrier_wait -1
	global_inv scope:SCOPE_SE
	v_add_f64_e32 v[36:37], v[1:2], v[17:18]
	v_add_f64_e32 v[11:12], v[21:22], v[25:26]
	;; [unrolled: 1-line block ×3, first 2 shown]
	v_add_f64_e64 v[44:45], v[17:18], -v[32:33]
	v_add_f64_e32 v[15:16], v[5:6], v[7:8]
	v_add_f64_e32 v[42:43], v[3:4], v[19:20]
	;; [unrolled: 1-line block ×3, first 2 shown]
	v_add_f64_e64 v[38:39], v[19:20], -v[9:10]
	v_add_f64_e64 v[40:41], v[5:6], -v[7:8]
	;; [unrolled: 1-line block ×8, first 2 shown]
	v_fma_f64 v[11:12], v[11:12], -0.5, v[1:2]
	v_fma_f64 v[1:2], v[13:14], -0.5, v[1:2]
	v_add_f64_e64 v[13:14], v[21:22], -v[25:26]
	v_fma_f64 v[15:16], v[15:16], -0.5, v[3:4]
	v_add_f64_e32 v[5:6], v[42:43], v[5:6]
	v_fma_f64 v[3:4], v[23:24], -0.5, v[3:4]
	v_add_f64_e64 v[23:24], v[17:18], -v[21:22]
	v_add_f64_e64 v[17:18], v[21:22], -v[17:18]
	v_add_f64_e32 v[21:22], v[36:37], v[21:22]
	v_add_f64_e32 v[19:20], v[19:20], v[54:55]
	v_fma_f64 v[36:37], v[38:39], s[14:15], v[11:12]
	v_fma_f64 v[42:43], v[40:41], s[12:13], v[1:2]
	;; [unrolled: 1-line block ×8, first 2 shown]
	v_add_f64_e32 v[21:22], v[21:22], v[25:26]
	v_add_f64_e32 v[5:6], v[5:6], v[7:8]
	;; [unrolled: 1-line block ×5, first 2 shown]
	v_fma_f64 v[7:8], v[40:41], s[4:5], v[36:37]
	v_fma_f64 v[25:26], v[38:39], s[4:5], v[42:43]
	s_wait_alu 0xfffe
	v_fma_f64 v[36:37], v[38:39], s[10:11], v[1:2]
	v_fma_f64 v[38:39], v[13:14], s[10:11], v[56:57]
	;; [unrolled: 1-line block ×6, first 2 shown]
	v_add_f64_e32 v[1:2], v[21:22], v[32:33]
	v_add_f64_e32 v[3:4], v[5:6], v[9:10]
	v_mul_lo_u16 v21, 0xeb, v27
	v_and_b32_e32 v22, 0xffff, v60
	s_delay_alu instid0(VALU_DEP_2) | instskip(NEXT) | instid1(VALU_DEP_1)
	v_lshrrev_b16 v27, 13, v21
	v_mul_lo_u16 v21, v27, 35
	s_delay_alu instid0(VALU_DEP_1) | instskip(NEXT) | instid1(VALU_DEP_1)
	v_sub_nc_u16 v21, v35, v21
	v_and_b32_e32 v60, 0xff, v21
	v_mul_u32_u24_e32 v21, 0x230, v22
	v_lshlrev_b32_e32 v22, 4, v61
	s_delay_alu instid0(VALU_DEP_1)
	v_add3_u32 v21, 0, v21, v22
	v_fma_f64 v[5:6], v[23:24], s[0:1], v[7:8]
	v_fma_f64 v[13:14], v[17:18], s[0:1], v[25:26]
	;; [unrolled: 1-line block ×8, first 2 shown]
	v_lshlrev_b32_e32 v23, 6, v60
	ds_store_b128 v21, v[1:4]
	ds_store_b128 v21, v[5:8] offset:112
	ds_store_b128 v21, v[13:16] offset:224
	;; [unrolled: 1-line block ×4, first 2 shown]
	global_wb scope:SCOPE_SE
	s_wait_dscnt 0x0
	s_barrier_signal -1
	s_barrier_wait -1
	global_inv scope:SCOPE_SE
	s_clause 0x3
	global_load_b128 v[1:4], v23, s[8:9] offset:448
	global_load_b128 v[5:8], v23, s[8:9] offset:464
	;; [unrolled: 1-line block ×4, first 2 shown]
	ds_load_b128 v[17:20], v0 offset:2800
	ds_load_b128 v[21:24], v0 offset:5600
	ds_load_b128 v[36:39], v0 offset:8400
	ds_load_b128 v[40:43], v0 offset:11200
	s_wait_loadcnt_dscnt 0x303
	v_mul_f64_e32 v[25:26], v[19:20], v[3:4]
	s_wait_loadcnt_dscnt 0x202
	v_mul_f64_e32 v[32:33], v[23:24], v[7:8]
	;; [unrolled: 2-line block ×4, first 2 shown]
	v_mul_f64_e32 v[7:8], v[21:22], v[7:8]
	v_mul_f64_e32 v[11:12], v[36:37], v[11:12]
	;; [unrolled: 1-line block ×4, first 2 shown]
	v_fma_f64 v[17:18], v[17:18], v[1:2], -v[25:26]
	v_fma_f64 v[21:22], v[21:22], v[5:6], -v[32:33]
	v_fma_f64 v[25:26], v[36:37], v[9:10], -v[44:45]
	v_fma_f64 v[32:33], v[40:41], v[13:14], -v[46:47]
	v_fma_f64 v[5:6], v[23:24], v[5:6], v[7:8]
	v_fma_f64 v[7:8], v[38:39], v[9:10], v[11:12]
	;; [unrolled: 1-line block ×4, first 2 shown]
	ds_load_b128 v[1:4], v0
	global_wb scope:SCOPE_SE
	s_wait_dscnt 0x0
	s_barrier_signal -1
	s_barrier_wait -1
	global_inv scope:SCOPE_SE
	v_add_f64_e32 v[36:37], v[1:2], v[17:18]
	v_add_f64_e32 v[11:12], v[21:22], v[25:26]
	;; [unrolled: 1-line block ×3, first 2 shown]
	v_add_f64_e64 v[44:45], v[17:18], -v[32:33]
	v_add_f64_e32 v[15:16], v[5:6], v[7:8]
	v_add_f64_e32 v[42:43], v[3:4], v[19:20]
	;; [unrolled: 1-line block ×3, first 2 shown]
	v_add_f64_e64 v[38:39], v[19:20], -v[9:10]
	v_add_f64_e64 v[40:41], v[5:6], -v[7:8]
	;; [unrolled: 1-line block ×8, first 2 shown]
	v_fma_f64 v[11:12], v[11:12], -0.5, v[1:2]
	v_fma_f64 v[1:2], v[13:14], -0.5, v[1:2]
	v_add_f64_e64 v[13:14], v[21:22], -v[25:26]
	v_fma_f64 v[15:16], v[15:16], -0.5, v[3:4]
	v_add_f64_e32 v[5:6], v[42:43], v[5:6]
	v_fma_f64 v[3:4], v[23:24], -0.5, v[3:4]
	v_add_f64_e64 v[23:24], v[17:18], -v[21:22]
	v_add_f64_e64 v[17:18], v[21:22], -v[17:18]
	v_add_f64_e32 v[21:22], v[36:37], v[21:22]
	v_add_f64_e32 v[19:20], v[19:20], v[54:55]
	v_fma_f64 v[36:37], v[38:39], s[14:15], v[11:12]
	v_fma_f64 v[42:43], v[40:41], s[12:13], v[1:2]
	;; [unrolled: 1-line block ×8, first 2 shown]
	v_add_f64_e32 v[21:22], v[21:22], v[25:26]
	v_add_f64_e32 v[5:6], v[5:6], v[7:8]
	;; [unrolled: 1-line block ×5, first 2 shown]
	v_fma_f64 v[7:8], v[40:41], s[4:5], v[36:37]
	v_fma_f64 v[25:26], v[38:39], s[4:5], v[42:43]
	;; [unrolled: 1-line block ×8, first 2 shown]
	v_add_f64_e32 v[1:2], v[21:22], v[32:33]
	v_add_f64_e32 v[3:4], v[5:6], v[9:10]
	v_and_b32_e32 v21, 0xffff, v27
	v_lshlrev_b32_e32 v22, 4, v60
	s_delay_alu instid0(VALU_DEP_2) | instskip(NEXT) | instid1(VALU_DEP_1)
	v_mul_u32_u24_e32 v21, 0xaf0, v21
	v_add3_u32 v21, 0, v21, v22
	v_fma_f64 v[5:6], v[23:24], s[0:1], v[7:8]
	v_fma_f64 v[13:14], v[17:18], s[0:1], v[25:26]
	;; [unrolled: 1-line block ×8, first 2 shown]
	ds_store_b128 v21, v[1:4]
	ds_store_b128 v21, v[5:8] offset:560
	ds_store_b128 v21, v[13:16] offset:1120
	;; [unrolled: 1-line block ×4, first 2 shown]
	global_wb scope:SCOPE_SE
	s_wait_dscnt 0x0
	s_barrier_signal -1
	s_barrier_wait -1
	global_inv scope:SCOPE_SE
	s_and_saveexec_b32 s18, vcc_lo
	s_cbranch_execz .LBB0_17
; %bb.16:
	v_dual_mov_b32 v2, 0 :: v_dual_lshlrev_b32 v1, 2, v35
	v_mad_co_u64_u32 v[59:60], null, s16, v34, 0
	v_add_nc_u32_e32 v65, 0x15e, v34
	v_mul_lo_u32 v27, s3, v30
	s_delay_alu instid0(VALU_DEP_4)
	v_lshlrev_b64_e32 v[1:2], 4, v[1:2]
	v_mul_lo_u32 v63, s2, v31
	v_mad_co_u64_u32 v[30:31], null, s2, v30, 0
	v_add_nc_u32_e32 v64, 0xaf, v34
	v_add_nc_u32_e32 v66, 0x20d, v34
	v_add_co_u32 v13, vcc_lo, s8, v1
	s_wait_alu 0xfffd
	v_add_co_ci_u32_e32 v14, vcc_lo, s9, v2, vcc_lo
	v_mad_co_u64_u32 v[61:62], null, s16, v64, 0
	s_clause 0x3
	global_load_b128 v[1:4], v[13:14], off offset:2704
	global_load_b128 v[5:8], v[13:14], off offset:2688
	;; [unrolled: 1-line block ×4, first 2 shown]
	ds_load_b128 v[17:20], v0 offset:5600
	ds_load_b128 v[21:24], v0 offset:2800
	;; [unrolled: 1-line block ×4, first 2 shown]
	ds_load_b128 v[43:46], v0
	v_add3_u32 v31, v31, v63, v27
	v_lshlrev_b64_e32 v[27:28], 4, v[28:29]
	s_wait_loadcnt_dscnt 0x304
	v_mul_f64_e32 v[25:26], v[1:2], v[19:20]
	s_wait_loadcnt_dscnt 0x203
	v_mul_f64_e32 v[32:33], v[5:6], v[23:24]
	;; [unrolled: 2-line block ×4, first 2 shown]
	v_mul_f64_e32 v[23:24], v[7:8], v[23:24]
	v_mul_f64_e32 v[37:38], v[11:12], v[37:38]
	;; [unrolled: 1-line block ×4, first 2 shown]
	v_fma_f64 v[3:4], v[3:4], v[17:18], v[25:26]
	v_fma_f64 v[7:8], v[7:8], v[21:22], v[32:33]
	;; [unrolled: 1-line block ×4, first 2 shown]
	v_fma_f64 v[5:6], v[21:22], v[5:6], -v[23:24]
	v_fma_f64 v[9:10], v[35:36], v[9:10], -v[37:38]
	v_fma_f64 v[0:1], v[17:18], v[1:2], -v[19:20]
	v_fma_f64 v[13:14], v[39:40], v[13:14], -v[41:42]
	s_wait_dscnt 0x0
	v_add_f64_e32 v[35:36], v[7:8], v[45:46]
	v_add_f64_e32 v[17:18], v[7:8], v[11:12]
	;; [unrolled: 1-line block ×5, first 2 shown]
	v_add_f64_e64 v[25:26], v[5:6], -v[9:10]
	v_add_f64_e32 v[23:24], v[0:1], v[13:14]
	v_add_f64_e64 v[32:33], v[0:1], -v[13:14]
	v_add_f64_e64 v[39:40], v[3:4], -v[15:16]
	;; [unrolled: 1-line block ×8, first 2 shown]
	v_fma_f64 v[17:18], v[17:18], -0.5, v[45:46]
	v_fma_f64 v[19:20], v[19:20], -0.5, v[45:46]
	v_add_f64_e32 v[0:1], v[0:1], v[37:38]
	v_fma_f64 v[21:22], v[21:22], -0.5, v[43:44]
	v_add_f64_e64 v[45:46], v[15:16], -v[11:12]
	v_fma_f64 v[23:24], v[23:24], -0.5, v[43:44]
	v_add_f64_e64 v[43:44], v[3:4], -v[7:8]
	v_add_f64_e64 v[7:8], v[7:8], -v[3:4]
	v_add_f64_e32 v[2:3], v[3:4], v[35:36]
	v_fma_f64 v[35:36], v[32:33], s[12:13], v[17:18]
	v_fma_f64 v[17:18], v[32:33], s[14:15], v[17:18]
	;; [unrolled: 1-line block ×8, first 2 shown]
	v_add_f64_e32 v[0:1], v[13:14], v[0:1]
	v_add_f64_e32 v[43:44], v[43:44], v[45:46]
	;; [unrolled: 1-line block ×6, first 2 shown]
	v_mov_b32_e32 v6, v60
	s_delay_alu instid0(VALU_DEP_1) | instskip(SKIP_1) | instid1(VALU_DEP_2)
	v_mad_co_u64_u32 v[6:7], null, s17, v34, v[6:7]
	v_lshlrev_b64_e32 v[7:8], 4, v[30:31]
	v_mov_b32_e32 v60, v6
	v_fma_f64 v[4:5], v[25:26], s[4:5], v[35:36]
	v_fma_f64 v[13:14], v[25:26], s[10:11], v[17:18]
	;; [unrolled: 1-line block ×8, first 2 shown]
	v_mad_co_u64_u32 v[35:36], null, s16, v65, 0
	v_add_nc_u32_e32 v67, 0x2bc, v34
	v_mad_co_u64_u32 v[37:38], null, s16, v66, 0
	v_mov_b32_e32 v19, v62
	v_add_f64_e32 v[2:3], v[11:12], v[2:3]
	v_add_f64_e32 v[0:1], v[9:10], v[0:1]
	v_mov_b32_e32 v24, v36
	v_mad_co_u64_u32 v[39:40], null, s16, v67, 0
	s_delay_alu instid0(VALU_DEP_1) | instskip(NEXT) | instid1(VALU_DEP_1)
	v_dual_mov_b32 v29, v38 :: v_dual_mov_b32 v30, v40
	v_mad_co_u64_u32 v[51:52], null, s17, v66, v[29:30]
	v_mad_co_u64_u32 v[29:30], null, s17, v67, v[30:31]
	s_delay_alu instid0(VALU_DEP_2)
	v_mov_b32_e32 v38, v51
	v_fma_f64 v[10:11], v[43:44], s[0:1], v[13:14]
	v_fma_f64 v[14:15], v[45:46], s[0:1], v[15:16]
	v_mad_co_u64_u32 v[40:41], null, s17, v64, v[19:20]
	v_mad_co_u64_u32 v[41:42], null, s17, v65, v[24:25]
	v_add_co_u32 v24, vcc_lo, s6, v7
	v_fma_f64 v[18:19], v[45:46], s[0:1], v[17:18]
	v_fma_f64 v[16:17], v[49:50], s[0:1], v[32:33]
	s_wait_alu 0xfffd
	v_add_co_ci_u32_e32 v30, vcc_lo, s7, v8, vcc_lo
	v_fma_f64 v[8:9], v[47:48], s[0:1], v[20:21]
	v_fma_f64 v[6:7], v[43:44], s[0:1], v[4:5]
	;; [unrolled: 1-line block ×4, first 2 shown]
	v_mov_b32_e32 v62, v40
	v_lshlrev_b64_e32 v[20:21], 4, v[59:60]
	v_add_co_u32 v31, vcc_lo, v24, v27
	v_mov_b32_e32 v36, v41
	s_wait_alu 0xfffd
	v_add_co_ci_u32_e32 v30, vcc_lo, v30, v28, vcc_lo
	v_lshlrev_b64_e32 v[22:23], 4, v[61:62]
	v_add_co_u32 v20, vcc_lo, v31, v20
	v_lshlrev_b64_e32 v[24:25], 4, v[35:36]
	v_mov_b32_e32 v40, v29
	s_wait_alu 0xfffd
	v_add_co_ci_u32_e32 v21, vcc_lo, v30, v21, vcc_lo
	v_lshlrev_b64_e32 v[26:27], 4, v[37:38]
	v_add_co_u32 v22, vcc_lo, v31, v22
	s_wait_alu 0xfffd
	v_add_co_ci_u32_e32 v23, vcc_lo, v30, v23, vcc_lo
	v_lshlrev_b64_e32 v[28:29], 4, v[39:40]
	v_add_co_u32 v24, vcc_lo, v31, v24
	s_wait_alu 0xfffd
	v_add_co_ci_u32_e32 v25, vcc_lo, v30, v25, vcc_lo
	v_add_co_u32 v26, vcc_lo, v31, v26
	s_wait_alu 0xfffd
	v_add_co_ci_u32_e32 v27, vcc_lo, v30, v27, vcc_lo
	;; [unrolled: 3-line block ×3, first 2 shown]
	s_clause 0x4
	global_store_b128 v[20:21], v[0:3], off
	global_store_b128 v[22:23], v[16:19], off
	;; [unrolled: 1-line block ×5, first 2 shown]
.LBB0_17:
	s_nop 0
	s_sendmsg sendmsg(MSG_DEALLOC_VGPRS)
	s_endpgm
	.section	.rodata,"a",@progbits
	.p2align	6, 0x0
	.amdhsa_kernel fft_rtc_fwd_len875_factors_7_5_5_5_wgs_175_tpt_175_dp_op_CI_CI_sbrr_dirReg
		.amdhsa_group_segment_fixed_size 0
		.amdhsa_private_segment_fixed_size 0
		.amdhsa_kernarg_size 104
		.amdhsa_user_sgpr_count 2
		.amdhsa_user_sgpr_dispatch_ptr 0
		.amdhsa_user_sgpr_queue_ptr 0
		.amdhsa_user_sgpr_kernarg_segment_ptr 1
		.amdhsa_user_sgpr_dispatch_id 0
		.amdhsa_user_sgpr_private_segment_size 0
		.amdhsa_wavefront_size32 1
		.amdhsa_uses_dynamic_stack 0
		.amdhsa_enable_private_segment 0
		.amdhsa_system_sgpr_workgroup_id_x 1
		.amdhsa_system_sgpr_workgroup_id_y 0
		.amdhsa_system_sgpr_workgroup_id_z 0
		.amdhsa_system_sgpr_workgroup_info 0
		.amdhsa_system_vgpr_workitem_id 0
		.amdhsa_next_free_vgpr 68
		.amdhsa_next_free_sgpr 43
		.amdhsa_reserve_vcc 1
		.amdhsa_float_round_mode_32 0
		.amdhsa_float_round_mode_16_64 0
		.amdhsa_float_denorm_mode_32 3
		.amdhsa_float_denorm_mode_16_64 3
		.amdhsa_fp16_overflow 0
		.amdhsa_workgroup_processor_mode 1
		.amdhsa_memory_ordered 1
		.amdhsa_forward_progress 0
		.amdhsa_round_robin_scheduling 0
		.amdhsa_exception_fp_ieee_invalid_op 0
		.amdhsa_exception_fp_denorm_src 0
		.amdhsa_exception_fp_ieee_div_zero 0
		.amdhsa_exception_fp_ieee_overflow 0
		.amdhsa_exception_fp_ieee_underflow 0
		.amdhsa_exception_fp_ieee_inexact 0
		.amdhsa_exception_int_div_zero 0
	.end_amdhsa_kernel
	.text
.Lfunc_end0:
	.size	fft_rtc_fwd_len875_factors_7_5_5_5_wgs_175_tpt_175_dp_op_CI_CI_sbrr_dirReg, .Lfunc_end0-fft_rtc_fwd_len875_factors_7_5_5_5_wgs_175_tpt_175_dp_op_CI_CI_sbrr_dirReg
                                        ; -- End function
	.section	.AMDGPU.csdata,"",@progbits
; Kernel info:
; codeLenInByte = 5520
; NumSgprs: 45
; NumVgprs: 68
; ScratchSize: 0
; MemoryBound: 1
; FloatMode: 240
; IeeeMode: 1
; LDSByteSize: 0 bytes/workgroup (compile time only)
; SGPRBlocks: 5
; VGPRBlocks: 8
; NumSGPRsForWavesPerEU: 45
; NumVGPRsForWavesPerEU: 68
; Occupancy: 15
; WaveLimiterHint : 1
; COMPUTE_PGM_RSRC2:SCRATCH_EN: 0
; COMPUTE_PGM_RSRC2:USER_SGPR: 2
; COMPUTE_PGM_RSRC2:TRAP_HANDLER: 0
; COMPUTE_PGM_RSRC2:TGID_X_EN: 1
; COMPUTE_PGM_RSRC2:TGID_Y_EN: 0
; COMPUTE_PGM_RSRC2:TGID_Z_EN: 0
; COMPUTE_PGM_RSRC2:TIDIG_COMP_CNT: 0
	.text
	.p2alignl 7, 3214868480
	.fill 96, 4, 3214868480
	.type	__hip_cuid_4f752c1896fd3987,@object ; @__hip_cuid_4f752c1896fd3987
	.section	.bss,"aw",@nobits
	.globl	__hip_cuid_4f752c1896fd3987
__hip_cuid_4f752c1896fd3987:
	.byte	0                               ; 0x0
	.size	__hip_cuid_4f752c1896fd3987, 1

	.ident	"AMD clang version 19.0.0git (https://github.com/RadeonOpenCompute/llvm-project roc-6.4.0 25133 c7fe45cf4b819c5991fe208aaa96edf142730f1d)"
	.section	".note.GNU-stack","",@progbits
	.addrsig
	.addrsig_sym __hip_cuid_4f752c1896fd3987
	.amdgpu_metadata
---
amdhsa.kernels:
  - .args:
      - .actual_access:  read_only
        .address_space:  global
        .offset:         0
        .size:           8
        .value_kind:     global_buffer
      - .offset:         8
        .size:           8
        .value_kind:     by_value
      - .actual_access:  read_only
        .address_space:  global
        .offset:         16
        .size:           8
        .value_kind:     global_buffer
      - .actual_access:  read_only
        .address_space:  global
        .offset:         24
        .size:           8
        .value_kind:     global_buffer
      - .actual_access:  read_only
        .address_space:  global
        .offset:         32
        .size:           8
        .value_kind:     global_buffer
      - .offset:         40
        .size:           8
        .value_kind:     by_value
      - .actual_access:  read_only
        .address_space:  global
        .offset:         48
        .size:           8
        .value_kind:     global_buffer
      - .actual_access:  read_only
        .address_space:  global
        .offset:         56
        .size:           8
        .value_kind:     global_buffer
      - .offset:         64
        .size:           4
        .value_kind:     by_value
      - .actual_access:  read_only
        .address_space:  global
        .offset:         72
        .size:           8
        .value_kind:     global_buffer
      - .actual_access:  read_only
        .address_space:  global
        .offset:         80
        .size:           8
        .value_kind:     global_buffer
      - .actual_access:  read_only
        .address_space:  global
        .offset:         88
        .size:           8
        .value_kind:     global_buffer
      - .actual_access:  write_only
        .address_space:  global
        .offset:         96
        .size:           8
        .value_kind:     global_buffer
    .group_segment_fixed_size: 0
    .kernarg_segment_align: 8
    .kernarg_segment_size: 104
    .language:       OpenCL C
    .language_version:
      - 2
      - 0
    .max_flat_workgroup_size: 175
    .name:           fft_rtc_fwd_len875_factors_7_5_5_5_wgs_175_tpt_175_dp_op_CI_CI_sbrr_dirReg
    .private_segment_fixed_size: 0
    .sgpr_count:     45
    .sgpr_spill_count: 0
    .symbol:         fft_rtc_fwd_len875_factors_7_5_5_5_wgs_175_tpt_175_dp_op_CI_CI_sbrr_dirReg.kd
    .uniform_work_group_size: 1
    .uses_dynamic_stack: false
    .vgpr_count:     68
    .vgpr_spill_count: 0
    .wavefront_size: 32
    .workgroup_processor_mode: 1
amdhsa.target:   amdgcn-amd-amdhsa--gfx1201
amdhsa.version:
  - 1
  - 2
...

	.end_amdgpu_metadata
